;; amdgpu-corpus repo=zjin-lcf/HeCBench kind=compiled arch=gfx1100 opt=O3
	.text
	.amdgcn_target "amdgcn-amd-amdhsa--gfx1100"
	.amdhsa_code_object_version 6
	.protected	_Z28Pathcalc_Portfolio_KernelGPUPfS_PKfPKiS1_fiii ; -- Begin function _Z28Pathcalc_Portfolio_KernelGPUPfS_PKfPKiS1_fiii
	.globl	_Z28Pathcalc_Portfolio_KernelGPUPfS_PKfPKiS1_fiii
	.p2align	8
	.type	_Z28Pathcalc_Portfolio_KernelGPUPfS_PKfPKiS1_fiii,@function
_Z28Pathcalc_Portfolio_KernelGPUPfS_PKfPKiS1_fiii: ; @_Z28Pathcalc_Portfolio_KernelGPUPfS_PKfPKiS1_fiii
; %bb.0:
	s_load_b32 s4, s[0:1], 0x44
	s_add_u32 s2, s0, 56
	s_addc_u32 s3, s1, 0
	s_waitcnt lgkmcnt(0)
	s_and_b32 s20, s4, 0xffff
	s_mov_b32 s4, exec_lo
	v_mad_u64_u32 v[4:5], null, s15, s20, v[0:1]
	s_delay_alu instid0(VALU_DEP_1)
	v_cmpx_gt_i32_e32 0x17700, v4
	s_cbranch_execz .LBB0_40
; %bb.1:
	s_load_b128 s[12:15], s[0:1], 0x28
	s_load_b32 s21, s[2:3], 0x0
	s_clause 0x1
	s_load_b64 s[2:3], s[0:1], 0x20
	s_load_b256 s[4:11], s[0:1], 0x0
	s_mov_b32 s16, 0
	v_add_nc_u32_e64 v7, 16, -4
	s_mov_b32 s17, s16
	s_mov_b32 s18, s16
	s_mov_b32 s19, s16
	v_dual_mov_b32 v13, 0x3d4ccccd :: v_dual_mov_b32 v0, s16
	v_dual_mov_b32 v12, 0x3e99999a :: v_dual_mov_b32 v1, s17
	;; [unrolled: 1-line block ×3, first 2 shown]
	v_add_nc_u32_e64 v8, 0xb0, -4
	v_add_nc_u32_e64 v9, 0x1f0, -4
	;; [unrolled: 1-line block ×3, first 2 shown]
	v_or_b32_e64 v11, 0x290, 4
	s_waitcnt lgkmcnt(0)
	v_mul_f32_e64 v5, 0x4f800000, s12
	v_cmp_gt_f32_e64 vcc_lo, 0xf800000, s12
	s_cmp_gt_i32 s14, 0
	s_mul_i32 s17, s21, s20
	s_cselect_b32 s20, -1, 0
	s_cmp_gt_i32 s13, 0
	v_cndmask_b32_e32 v5, s12, v5, vcc_lo
	s_cselect_b32 s21, -1, 0
	s_sub_i32 s22, s14, s13
	s_mul_i32 s1, s14, s13
	s_cmp_gt_i32 s22, 0
	v_sqrt_f32_e32 v6, v5
	s_cselect_b32 s23, -1, 0
	s_lshl_b32 s18, s13, 2
	s_cmp_gt_i32 s15, 0
	v_add_nc_u32_e64 v14, 0x290, s18
	s_cselect_b32 s24, -1, 0
	s_cmp_gt_i32 s14, s13
	s_cselect_b32 s25, -1, 0
	s_lshl_b32 s27, s14, 2
	s_waitcnt_depctr 0xfff
	v_add_nc_u32_e32 v16, 1, v6
	v_add_nc_u32_e32 v15, -1, v6
	s_xor_b32 s19, s18, -4
	s_add_i32 s18, s18, 4
	s_add_i32 s29, s27, 4
	v_fma_f32 v18, -v16, v6, v5
	v_fma_f32 v17, -v15, v6, v5
	s_lshl_b32 s1, s1, 2
	s_add_i32 s26, 0x290, -4
	s_add_i32 s31, s1, 0x3d0
	s_add_i32 s28, s22, 1
	v_cmp_ge_f32_e64 s0, 0, v17
	v_add_nc_u32_e64 v17, 0x1f0, s19
	s_sub_i32 s30, 0, s27
	s_add_i32 s31, s31, -4
	s_add_i32 s33, s26, s27
	v_cndmask_b32_e64 v6, v6, v15, s0
	v_cmp_lt_f32_e64 s0, 0, v18
	v_add_nc_u32_e64 v15, s19, 16
	s_not_b32 s35, s13
	s_delay_alu instid0(VALU_DEP_2) | instskip(SKIP_3) | instid1(VALU_DEP_2)
	v_cndmask_b32_e64 v6, v6, v16, s0
	s_mul_i32 s0, s14, s18
	v_add_nc_u32_e64 v16, 0x150, s19
	s_add_i32 s34, s0, 0x3d0
	v_mul_f32_e32 v18, 0x37800000, v6
	s_add_i32 s34, s34, -4
	s_delay_alu instid0(VALU_DEP_1) | instskip(SKIP_2) | instid1(VALU_DEP_3)
	v_cndmask_b32_e32 v6, v6, v18, vcc_lo
	v_cmp_class_f32_e64 vcc_lo, v5, 0x260
	v_add_nc_u32_e64 v18, 0x3d0, s29
	v_cndmask_b32_e32 v19, v6, v5, vcc_lo
	s_branch .LBB0_3
.LBB0_2:                                ;   in Loop: Header=BB0_3 Depth=1
	scratch_load_b32 v20, off, off offset:972
	v_add_nc_u32_e32 v4, s17, v4
	v_add_co_u32 v5, s0, s6, v5
	s_delay_alu instid0(VALU_DEP_1) | instskip(NEXT) | instid1(VALU_DEP_3)
	v_add_co_ci_u32_e64 v6, s0, s7, v6, s0
	v_cmp_lt_i32_e32 vcc_lo, 0x176ff, v4
	s_or_b32 s16, vcc_lo, s16
	s_waitcnt vmcnt(0)
	global_store_b32 v[5:6], v20, off
	s_and_not1_b32 exec_lo, exec_lo, s16
	s_cbranch_execz .LBB0_40
.LBB0_3:                                ; =>This Loop Header: Depth=1
                                        ;     Child Loop BB0_5 Depth 2
                                        ;     Child Loop BB0_7 Depth 2
	;; [unrolled: 1-line block ×3, first 2 shown]
                                        ;       Child Loop BB0_13 Depth 3
                                        ;     Child Loop BB0_16 Depth 2
                                        ;     Child Loop BB0_20 Depth 2
	;; [unrolled: 1-line block ×7, first 2 shown]
                                        ;       Child Loop BB0_39 Depth 3
	s_and_not1_b32 vcc_lo, exec_lo, s20
	s_cbranch_vccnz .LBB0_8
; %bb.4:                                ;   in Loop: Header=BB0_3 Depth=1
	v_mov_b32_e32 v5, 0x3710
	v_mov_b32_e32 v6, 0x290
	s_mov_b32 s0, s14
.LBB0_5:                                ;   Parent Loop BB0_3 Depth=1
                                        ; =>  This Inner Loop Header: Depth=2
	scratch_store_b32 v5, v12, off
	scratch_store_b32 v6, v13, off
	v_add_nc_u32_e32 v5, 4, v5
	v_add_nc_u32_e32 v6, 4, v6
	s_add_i32 s0, s0, -1
	s_delay_alu instid0(SALU_CYCLE_1)
	s_cmp_lg_u32 s0, 0
	s_cbranch_scc1 .LBB0_5
; %bb.6:                                ;   in Loop: Header=BB0_3 Depth=1
	v_mov_b32_e32 v5, 0x3d0
	v_mov_b32_e32 v6, 0x290
	s_mov_b32 s0, s14
.LBB0_7:                                ;   Parent Loop BB0_3 Depth=1
                                        ; =>  This Inner Loop Header: Depth=2
	scratch_load_b32 v20, v6, off
	v_add_nc_u32_e32 v6, 4, v6
	s_add_i32 s0, s0, -1
	s_delay_alu instid0(SALU_CYCLE_1)
	s_cmp_eq_u32 s0, 0
	s_waitcnt vmcnt(0)
	scratch_store_b32 v5, v20, off
	v_add_nc_u32_e32 v5, 4, v5
	s_cbranch_scc0 .LBB0_7
.LBB0_8:                                ;   in Loop: Header=BB0_3 Depth=1
	s_and_not1_b32 vcc_lo, exec_lo, s21
	s_cbranch_vccnz .LBB0_14
; %bb.9:                                ;   in Loop: Header=BB0_3 Depth=1
	v_dual_mov_b32 v5, v11 :: v_dual_mov_b32 v6, v18
	s_mov_b32 s18, 0
	s_branch .LBB0_11
.LBB0_10:                               ;   in Loop: Header=BB0_11 Depth=2
	s_set_inst_prefetch_distance 0x2
	v_add_nc_u32_e32 v6, s29, v6
	v_add_nc_u32_e32 v5, 4, v5
	s_cmp_eq_u32 s18, s13
	s_cbranch_scc1 .LBB0_14
.LBB0_11:                               ;   Parent Loop BB0_3 Depth=1
                                        ; =>  This Loop Header: Depth=2
                                        ;       Child Loop BB0_13 Depth 3
	s_mov_b32 s0, s18
	s_add_i32 s18, s18, 1
	s_delay_alu instid0(SALU_CYCLE_1)
	s_cmp_ge_i32 s18, s14
	s_cbranch_scc1 .LBB0_10
; %bb.12:                               ;   in Loop: Header=BB0_11 Depth=2
	s_lshl_b32 s0, s0, 2
	v_dual_mov_b32 v20, 0 :: v_dual_mov_b32 v21, v5
	s_addk_i32 s0, 0x3710
	s_mov_b32 s19, s18
	scratch_load_b32 v22, off, s0
	s_mov_b64 s[0:1], s[8:9]
	s_waitcnt vmcnt(0)
	v_dual_mov_b32 v23, v6 :: v_dual_mul_f32 v22, v19, v22
	s_set_inst_prefetch_distance 0x1
	.p2align	6
.LBB0_13:                               ;   Parent Loop BB0_3 Depth=1
                                        ;     Parent Loop BB0_11 Depth=2
                                        ; =>    This Inner Loop Header: Depth=3
	scratch_load_b32 v24, v21, off
	s_load_b32 s36, s[0:1], 0x0
	s_add_i32 s19, s19, 1
	s_add_u32 s0, s0, 4
	s_addc_u32 s1, s1, 0
	s_cmp_ge_i32 s19, s14
	s_waitcnt lgkmcnt(0)
	v_mul_f32_e64 v25, s36, s12
	s_waitcnt vmcnt(0)
	s_delay_alu instid0(VALU_DEP_1) | instskip(SKIP_1) | instid1(VALU_DEP_1)
	v_mul_f32_e32 v26, v25, v24
	v_fma_f32 v27, v24, s12, 1.0
	v_div_scale_f32 v28, null, v27, v27, v26
	s_delay_alu instid0(VALU_DEP_1) | instskip(SKIP_2) | instid1(VALU_DEP_1)
	v_rcp_f32_e32 v29, v28
	s_waitcnt_depctr 0xfff
	v_fma_f32 v30, -v28, v29, 1.0
	v_fmac_f32_e32 v29, v30, v29
	v_div_scale_f32 v31, vcc_lo, v26, v27, v26
	s_delay_alu instid0(VALU_DEP_1) | instskip(NEXT) | instid1(VALU_DEP_1)
	v_mul_f32_e32 v30, v31, v29
	v_fma_f32 v32, -v28, v30, v31
	s_delay_alu instid0(VALU_DEP_1) | instskip(NEXT) | instid1(VALU_DEP_1)
	v_fmac_f32_e32 v30, v32, v29
	v_fma_f32 v28, -v28, v30, v31
	s_delay_alu instid0(VALU_DEP_1) | instskip(NEXT) | instid1(VALU_DEP_1)
	v_div_fmas_f32 v28, v28, v29, v30
	v_div_fixup_f32 v26, v28, v27, v26
	s_delay_alu instid0(VALU_DEP_1) | instskip(SKIP_1) | instid1(VALU_DEP_2)
	v_add_f32_e32 v20, v20, v26
	v_fma_f32 v26, -0.5, v25, v22
	v_mul_f32_e32 v25, v25, v20
	s_delay_alu instid0(VALU_DEP_1) | instskip(NEXT) | instid1(VALU_DEP_1)
	v_fmac_f32_e32 v25, s36, v26
	v_mul_f32_e32 v25, 0x3fb8aa3b, v25
	s_delay_alu instid0(VALU_DEP_1)
	v_exp_f32_e32 v25, v25
	s_waitcnt_depctr 0xfff
	v_mul_f32_e32 v24, v24, v25
	scratch_store_b32 v21, v24, off
	scratch_store_b32 v23, v24, off
	v_add_nc_u32_e32 v23, 4, v23
	v_add_nc_u32_e32 v21, 4, v21
	s_cbranch_scc0 .LBB0_13
	s_branch .LBB0_10
.LBB0_14:                               ;   in Loop: Header=BB0_3 Depth=1
	s_and_not1_b32 vcc_lo, exec_lo, s23
	s_cbranch_vccnz .LBB0_17
; %bb.15:                               ;   in Loop: Header=BB0_3 Depth=1
	v_dual_mov_b32 v5, 0xb0 :: v_dual_mov_b32 v6, 16
	v_dual_mov_b32 v20, 0 :: v_dual_mov_b32 v21, 1.0
	v_mov_b32_e32 v22, v14
	s_mov_b32 s0, 0
	s_set_inst_prefetch_distance 0x1
	.p2align	6
.LBB0_16:                               ;   Parent Loop BB0_3 Depth=1
                                        ; =>  This Inner Loop Header: Depth=2
	scratch_load_b32 v23, v22, off
	s_add_i32 s0, s0, 1
	v_add_nc_u32_e32 v22, 4, v22
	s_cmp_ge_i32 s0, s22
	s_waitcnt vmcnt(0)
	v_fma_f32 v23, v23, s12, 1.0
	s_delay_alu instid0(VALU_DEP_1) | instskip(SKIP_1) | instid1(VALU_DEP_2)
	v_div_scale_f32 v24, null, v23, v23, v21
	v_div_scale_f32 v27, vcc_lo, v21, v23, v21
	v_rcp_f32_e32 v25, v24
	s_waitcnt_depctr 0xfff
	v_fma_f32 v26, -v24, v25, 1.0
	s_delay_alu instid0(VALU_DEP_1) | instskip(NEXT) | instid1(VALU_DEP_1)
	v_fmac_f32_e32 v25, v26, v25
	v_mul_f32_e32 v26, v27, v25
	s_delay_alu instid0(VALU_DEP_1) | instskip(NEXT) | instid1(VALU_DEP_1)
	v_fma_f32 v28, -v24, v26, v27
	v_fmac_f32_e32 v26, v28, v25
	s_delay_alu instid0(VALU_DEP_1) | instskip(NEXT) | instid1(VALU_DEP_1)
	v_fma_f32 v24, -v24, v26, v27
	v_div_fmas_f32 v24, v24, v25, v26
	s_delay_alu instid0(VALU_DEP_1) | instskip(NEXT) | instid1(VALU_DEP_1)
	v_div_fixup_f32 v21, v24, v23, v21
	v_fmac_f32_e32 v20, s12, v21
	scratch_store_b32 v6, v21, off
	v_add_nc_u32_e32 v6, 4, v6
	scratch_store_b32 v5, v20, off
	v_add_nc_u32_e32 v5, 4, v5
	s_cbranch_scc0 .LBB0_16
.LBB0_17:                               ;   in Loop: Header=BB0_3 Depth=1
	s_set_inst_prefetch_distance 0x2
	v_mov_b32_e32 v5, 0
	s_and_not1_b32 vcc_lo, exec_lo, s24
	s_clause 0x13
	scratch_store_b128 off, v[0:3], off offset:336
	scratch_store_b128 off, v[0:3], off offset:352
	scratch_store_b128 off, v[0:3], off offset:496
	scratch_store_b128 off, v[0:3], off offset:512
	scratch_store_b128 off, v[0:3], off offset:368
	scratch_store_b128 off, v[0:3], off offset:384
	scratch_store_b128 off, v[0:3], off offset:528
	scratch_store_b128 off, v[0:3], off offset:544
	scratch_store_b128 off, v[0:3], off offset:400
	scratch_store_b128 off, v[0:3], off offset:416
	scratch_store_b128 off, v[0:3], off offset:560
	scratch_store_b128 off, v[0:3], off offset:576
	scratch_store_b128 off, v[0:3], off offset:432
	scratch_store_b128 off, v[0:3], off offset:448
	scratch_store_b128 off, v[0:3], off offset:592
	scratch_store_b128 off, v[0:3], off offset:608
	scratch_store_b128 off, v[0:3], off offset:464
	scratch_store_b128 off, v[0:3], off offset:480
	scratch_store_b128 off, v[0:3], off offset:624
	scratch_store_b128 off, v[0:3], off offset:640
	s_cbranch_vccnz .LBB0_22
; %bb.18:                               ;   in Loop: Header=BB0_3 Depth=1
	s_mov_b64 s[0:1], s[2:3]
	s_mov_b64 s[18:19], s[10:11]
	s_mov_b32 s36, s15
	s_set_inst_prefetch_distance 0x1
	s_branch .LBB0_20
	.p2align	6
.LBB0_19:                               ;   in Loop: Header=BB0_20 Depth=2
	s_or_b32 exec_lo, exec_lo, s38
	s_add_i32 s36, s36, -1
	s_add_u32 s18, s18, 4
	s_addc_u32 s19, s19, 0
	s_add_u32 s0, s0, 4
	s_addc_u32 s1, s1, 0
	s_cmp_eq_u32 s36, 0
	s_cbranch_scc1 .LBB0_22
.LBB0_20:                               ;   Parent Loop BB0_3 Depth=1
                                        ; =>  This Inner Loop Header: Depth=2
	s_load_b32 s37, s[18:19], 0x0
	s_mov_b32 s38, exec_lo
	s_waitcnt lgkmcnt(0)
	s_lshl_b32 s37, s37, 2
	s_delay_alu instid0(SALU_CYCLE_1)
	v_add_nc_u32_e32 v6, s37, v7
	v_add_nc_u32_e32 v20, s37, v8
	scratch_load_b32 v6, v6, off
	scratch_load_b32 v20, v20, off
	s_load_b32 s39, s[0:1], 0x0
	s_waitcnt vmcnt(0) lgkmcnt(0)
	v_fmac_f32_e32 v6, s39, v20
	s_delay_alu instid0(VALU_DEP_1) | instskip(NEXT) | instid1(VALU_DEP_1)
	v_add_f32_e32 v6, -1.0, v6
	v_cmpx_gt_f32_e32 0, v6
	s_cbranch_execz .LBB0_19
; %bb.21:                               ;   in Loop: Header=BB0_20 Depth=2
	v_add_nc_u32_e32 v20, s37, v9
	v_add_nc_u32_e32 v21, s37, v10
	v_fmac_f32_e32 v5, 0xc2c80000, v6
	scratch_load_b32 v22, v20, off
	scratch_load_b32 v23, v21, off
	s_waitcnt vmcnt(1)
	v_fmac_f32_e64 v22, 0xc2c80000, s39
	s_waitcnt vmcnt(0)
	v_add_f32_e32 v23, 0xc2c80000, v23
	scratch_store_b32 v20, v22, off
	scratch_store_b32 v21, v23, off
	s_branch .LBB0_19
.LBB0_22:                               ;   in Loop: Header=BB0_3 Depth=1
	s_set_inst_prefetch_distance 0x2
	v_dual_mov_b32 v6, v17 :: v_dual_mov_b32 v21, v15
	v_mov_b32_e32 v20, v16
	s_and_not1_b32 vcc_lo, exec_lo, s23
	s_mov_b32 s0, s28
	s_mov_b32 s1, s26
	s_cbranch_vccz .LBB0_28
.LBB0_23:                               ;   in Loop: Header=BB0_3 Depth=1
	s_and_not1_b32 vcc_lo, exec_lo, s21
	s_cbranch_vccnz .LBB0_30
; %bb.24:                               ;   in Loop: Header=BB0_3 Depth=1
	v_mov_b32_e32 v20, 0x290
	v_mov_b32_e32 v6, 1.0
	s_mov_b32 s0, s13
	.p2align	6
.LBB0_25:                               ;   Parent Loop BB0_3 Depth=1
                                        ; =>  This Inner Loop Header: Depth=2
	scratch_load_b32 v21, v20, off
	s_add_i32 s0, s0, -1
	v_add_nc_u32_e32 v20, 4, v20
	s_cmp_lg_u32 s0, 0
	s_waitcnt vmcnt(0)
	v_fma_f32 v21, v21, s12, 1.0
	s_delay_alu instid0(VALU_DEP_1) | instskip(SKIP_1) | instid1(VALU_DEP_2)
	v_div_scale_f32 v22, null, v21, v21, v6
	v_div_scale_f32 v25, vcc_lo, v6, v21, v6
	v_rcp_f32_e32 v23, v22
	s_waitcnt_depctr 0xfff
	v_fma_f32 v24, -v22, v23, 1.0
	s_delay_alu instid0(VALU_DEP_1) | instskip(NEXT) | instid1(VALU_DEP_1)
	v_fmac_f32_e32 v23, v24, v23
	v_mul_f32_e32 v24, v25, v23
	s_delay_alu instid0(VALU_DEP_1) | instskip(NEXT) | instid1(VALU_DEP_1)
	v_fma_f32 v26, -v22, v24, v25
	v_fmac_f32_e32 v24, v26, v23
	s_delay_alu instid0(VALU_DEP_1) | instskip(NEXT) | instid1(VALU_DEP_1)
	v_fma_f32 v22, -v22, v24, v25
	v_div_fmas_f32 v22, v22, v23, v24
	s_delay_alu instid0(VALU_DEP_1)
	v_div_fixup_f32 v6, v22, v21, v6
	s_cbranch_scc1 .LBB0_25
; %bb.26:                               ;   in Loop: Header=BB0_3 Depth=1
	s_delay_alu instid0(VALU_DEP_1)
	v_mul_f32_e32 v20, v5, v6
	s_and_not1_b32 vcc_lo, exec_lo, s21
	s_cbranch_vccz .LBB0_31
	s_branch .LBB0_33
.LBB0_27:                               ;   in Loop: Header=BB0_28 Depth=2
	v_add_nc_u32_e32 v21, -4, v21
	v_add_nc_u32_e32 v20, -4, v20
	;; [unrolled: 1-line block ×3, first 2 shown]
	s_add_i32 s0, s0, -1
	s_add_i32 s1, s1, -4
	s_cmp_lt_u32 s0, 2
	s_cbranch_scc1 .LBB0_23
.LBB0_28:                               ;   Parent Loop BB0_3 Depth=1
                                        ; =>  This Inner Loop Header: Depth=2
	s_add_i32 s18, s1, s27
	v_add_nc_u32_e32 v27, s27, v21
	scratch_load_b32 v26, off, s18
	s_cmp_eq_u32 s0, 2
	s_waitcnt vmcnt(0)
	v_fma_f32 v26, v26, s12, 1.0
	s_delay_alu instid0(VALU_DEP_1) | instskip(NEXT) | instid1(VALU_DEP_1)
	v_div_scale_f32 v28, null, v26, v26, s12
	v_rcp_f32_e32 v29, v28
	s_waitcnt_depctr 0xfff
	v_fma_f32 v30, -v28, v29, 1.0
	s_delay_alu instid0(VALU_DEP_1) | instskip(SKIP_1) | instid1(VALU_DEP_1)
	v_dual_fmac_f32 v29, v30, v29 :: v_dual_add_nc_u32 v22, s27, v6
	v_div_scale_f32 v30, vcc_lo, s12, v26, s12
	v_mul_f32_e32 v31, v30, v29
	s_delay_alu instid0(VALU_DEP_1) | instskip(NEXT) | instid1(VALU_DEP_1)
	v_fma_f32 v32, -v28, v31, v30
	v_fmac_f32_e32 v31, v32, v29
	s_delay_alu instid0(VALU_DEP_1) | instskip(NEXT) | instid1(VALU_DEP_1)
	v_fma_f32 v28, -v28, v31, v30
	v_div_fmas_f32 v28, v28, v29, v31
	s_delay_alu instid0(VALU_DEP_1)
	v_div_fixup_f32 v26, v28, v26, s12
	v_add_nc_u32_e32 v23, s27, v20
	scratch_load_b32 v24, v22, off
	scratch_load_b32 v25, v23, off
	;; [unrolled: 1-line block ×3, first 2 shown]
	s_waitcnt vmcnt(1)
	v_fmac_f32_e32 v25, s12, v24
	s_waitcnt vmcnt(0)
	s_delay_alu instid0(VALU_DEP_1) | instskip(NEXT) | instid1(VALU_DEP_1)
	v_mul_f32_e64 v27, v27, -v25
	v_mul_f32_e32 v26, v27, v26
	scratch_store_b32 v23, v25, off
	scratch_store_b32 off, v26, s18
	s_cbranch_scc1 .LBB0_27
; %bb.29:                               ;   in Loop: Header=BB0_28 Depth=2
	scratch_load_b32 v27, v22, off offset:-4
	scratch_load_b32 v28, v23, off offset:-4
	v_fma_f32 v26, v26, s12, 1.0
	s_delay_alu instid0(VALU_DEP_1) | instskip(SKIP_1) | instid1(VALU_DEP_2)
	v_div_scale_f32 v29, null, v26, v26, v25
	v_div_scale_f32 v32, vcc_lo, v25, v26, v25
	v_rcp_f32_e32 v30, v29
	s_waitcnt_depctr 0xfff
	v_fma_f32 v31, -v29, v30, 1.0
	s_delay_alu instid0(VALU_DEP_1) | instskip(NEXT) | instid1(VALU_DEP_1)
	v_fmac_f32_e32 v30, v31, v30
	v_mul_f32_e32 v31, v32, v30
	s_delay_alu instid0(VALU_DEP_1) | instskip(SKIP_1) | instid1(VALU_DEP_1)
	v_fma_f32 v33, -v29, v31, v32
	s_waitcnt vmcnt(1)
	v_dual_fmac_f32 v31, v33, v30 :: v_dual_add_f32 v24, v24, v27
	s_delay_alu instid0(VALU_DEP_1) | instskip(NEXT) | instid1(VALU_DEP_1)
	v_fma_f32 v29, -v29, v31, v32
	v_div_fmas_f32 v29, v29, v30, v31
	s_delay_alu instid0(VALU_DEP_1) | instskip(SKIP_1) | instid1(VALU_DEP_1)
	v_div_fixup_f32 v25, v29, v26, v25
	s_waitcnt vmcnt(0)
	v_add_f32_e32 v25, v25, v28
	scratch_store_b32 v22, v24, off offset:-4
	scratch_store_b32 v23, v25, off offset:-4
	s_branch .LBB0_27
.LBB0_30:                               ;   in Loop: Header=BB0_3 Depth=1
	v_mov_b32_e32 v6, 1.0
	s_delay_alu instid0(VALU_DEP_1)
	v_mul_f32_e32 v20, v5, v6
	s_and_not1_b32 vcc_lo, exec_lo, s21
	s_cbranch_vccnz .LBB0_33
.LBB0_31:                               ;   in Loop: Header=BB0_3 Depth=1
	s_delay_alu instid0(VALU_DEP_1)
	v_mul_f32_e64 v5, -v20, s12
	v_mov_b32_e32 v21, 0x290
	s_mov_b32 s0, s13
	.p2align	6
.LBB0_32:                               ;   Parent Loop BB0_3 Depth=1
                                        ; =>  This Inner Loop Header: Depth=2
	scratch_load_b32 v22, v21, off
	s_add_i32 s0, s0, -1
	s_delay_alu instid0(SALU_CYCLE_1) | instskip(SKIP_2) | instid1(VALU_DEP_1)
	s_cmp_eq_u32 s0, 0
	s_waitcnt vmcnt(0)
	v_fma_f32 v22, v22, s12, 1.0
	v_div_scale_f32 v23, null, v22, v22, v5
	v_div_scale_f32 v26, vcc_lo, v5, v22, v5
	s_delay_alu instid0(VALU_DEP_2) | instskip(SKIP_2) | instid1(VALU_DEP_1)
	v_rcp_f32_e32 v24, v23
	s_waitcnt_depctr 0xfff
	v_fma_f32 v25, -v23, v24, 1.0
	v_fmac_f32_e32 v24, v25, v24
	s_delay_alu instid0(VALU_DEP_1) | instskip(NEXT) | instid1(VALU_DEP_1)
	v_mul_f32_e32 v25, v26, v24
	v_fma_f32 v27, -v23, v25, v26
	s_delay_alu instid0(VALU_DEP_1) | instskip(NEXT) | instid1(VALU_DEP_1)
	v_fmac_f32_e32 v25, v27, v24
	v_fma_f32 v23, -v23, v25, v26
	s_delay_alu instid0(VALU_DEP_1) | instskip(NEXT) | instid1(VALU_DEP_1)
	v_div_fmas_f32 v23, v23, v24, v25
	v_div_fixup_f32 v22, v23, v22, v5
	scratch_store_b32 v21, v22, off
	v_add_nc_u32_e32 v21, 4, v21
	s_cbranch_scc0 .LBB0_32
.LBB0_33:                               ;   in Loop: Header=BB0_3 Depth=1
	v_mov_b32_e32 v5, v14
	s_and_not1_b32 vcc_lo, exec_lo, s25
	s_mov_b32 s0, s13
	s_cbranch_vccnz .LBB0_35
.LBB0_34:                               ;   Parent Loop BB0_3 Depth=1
                                        ; =>  This Inner Loop Header: Depth=2
	scratch_load_b32 v21, v5, off
	s_add_i32 s0, s0, 1
	s_delay_alu instid0(SALU_CYCLE_1)
	s_cmp_lt_i32 s0, s14
	s_waitcnt vmcnt(0)
	v_mul_f32_e32 v21, v6, v21
	scratch_store_b32 v5, v21, off
	v_add_nc_u32_e32 v5, 4, v5
	s_cbranch_scc1 .LBB0_34
.LBB0_35:                               ;   in Loop: Header=BB0_3 Depth=1
	v_ashrrev_i32_e32 v5, 31, v4
	s_mov_b32 s1, s35
	s_mov_b32 s18, s34
	;; [unrolled: 1-line block ×4, first 2 shown]
	v_lshlrev_b64 v[5:6], 2, v[4:5]
	s_delay_alu instid0(VALU_DEP_1) | instskip(NEXT) | instid1(VALU_DEP_2)
	v_add_co_u32 v21, vcc_lo, s4, v5
	v_add_co_ci_u32_e32 v22, vcc_lo, s5, v6, vcc_lo
	s_and_not1_b32 vcc_lo, exec_lo, s21
	global_store_b32 v[21:22], v20, off
	s_cbranch_vccz .LBB0_37
	s_branch .LBB0_2
.LBB0_36:                               ;   in Loop: Header=BB0_37 Depth=2
	s_add_i32 s0, s36, -1
	s_add_i32 s19, s19, s30
	s_add_i32 s18, s18, s30
	;; [unrolled: 1-line block ×3, first 2 shown]
	s_cmp_lt_i32 s36, 2
	s_mov_b32 s36, s0
	s_cbranch_scc1 .LBB0_2
.LBB0_37:                               ;   Parent Loop BB0_3 Depth=1
                                        ; =>  This Loop Header: Depth=2
                                        ;       Child Loop BB0_39 Depth 3
	s_cmp_ge_i32 s36, s14
	s_cbranch_scc1 .LBB0_36
; %bb.38:                               ;   in Loop: Header=BB0_37 Depth=2
	v_mov_b32_e32 v20, 0
	s_mov_b32 s37, s18
	s_mov_b32 s38, s33
	;; [unrolled: 1-line block ×4, first 2 shown]
.LBB0_39:                               ;   Parent Loop BB0_3 Depth=1
                                        ;     Parent Loop BB0_37 Depth=2
                                        ; =>    This Inner Loop Header: Depth=3
	scratch_load_b32 v21, off, s39
	scratch_load_b32 v22, off, s37
	;; [unrolled: 1-line block ×3, first 2 shown]
	s_add_i32 s40, s1, s0
	s_add_i32 s42, s0, -1
	s_ashr_i32 s41, s40, 31
	s_delay_alu instid0(SALU_CYCLE_1) | instskip(NEXT) | instid1(SALU_CYCLE_1)
	s_lshl_b64 s[40:41], s[40:41], 2
	s_add_u32 s40, s8, s40
	s_addc_u32 s41, s9, s41
	s_add_i32 s39, s39, -4
	s_load_b32 s40, s[40:41], 0x0
	s_add_i32 s37, s37, -4
	s_waitcnt vmcnt(2)
	v_fma_f32 v24, v21, s12, 1.0
	s_waitcnt vmcnt(1)
	v_div_scale_f32 v27, null, v21, v21, v22
	s_waitcnt lgkmcnt(0)
	v_mul_f32_e32 v28, s40, v22
	v_div_scale_f32 v29, s0, v22, v21, v22
	v_div_scale_f32 v25, null, v24, v24, s12
	v_rcp_f32_e32 v30, v27
	s_delay_alu instid0(VALU_DEP_1) | instskip(SKIP_2) | instid1(VALU_DEP_1)
	v_rcp_f32_e32 v26, v25
	s_waitcnt_depctr 0xfff
	v_fma_f32 v31, -v25, v26, 1.0
	v_fmac_f32_e32 v26, v31, v26
	v_fma_f32 v31, -v27, v30, 1.0
	s_delay_alu instid0(VALU_DEP_1) | instskip(SKIP_3) | instid1(VALU_DEP_3)
	v_fmac_f32_e32 v30, v31, v30
	s_waitcnt vmcnt(0)
	v_fmac_f32_e32 v20, v28, v23
	v_div_scale_f32 v28, vcc_lo, s12, v24, s12
	v_mul_f32_e32 v33, v29, v30
	s_delay_alu instid0(VALU_DEP_2) | instskip(NEXT) | instid1(VALU_DEP_1)
	v_mul_f32_e32 v32, v28, v26
	v_fma_f32 v31, -v25, v32, v28
	s_delay_alu instid0(VALU_DEP_1) | instskip(NEXT) | instid1(VALU_DEP_4)
	v_fmac_f32_e32 v32, v31, v26
	v_fma_f32 v31, -v27, v33, v29
	s_delay_alu instid0(VALU_DEP_2) | instskip(NEXT) | instid1(VALU_DEP_2)
	v_fma_f32 v25, -v25, v32, v28
	v_fmac_f32_e32 v33, v31, v30
	s_delay_alu instid0(VALU_DEP_2) | instskip(SKIP_1) | instid1(VALU_DEP_3)
	v_div_fmas_f32 v25, v25, v26, v32
	v_mul_f32_e32 v26, s40, v20
	v_fma_f32 v27, -v27, v33, v29
	s_mov_b32 vcc_lo, s0
	s_mov_b32 s0, s42
	v_div_fixup_f32 v24, v25, v24, s12
	s_delay_alu instid0(VALU_DEP_2) | instskip(NEXT) | instid1(VALU_DEP_2)
	v_div_fmas_f32 v25, v27, v30, v33
	v_mul_f32_e32 v26, v26, v24
	s_delay_alu instid0(VALU_DEP_2) | instskip(NEXT) | instid1(VALU_DEP_2)
	v_div_fixup_f32 v21, v25, v21, v22
	v_mul_f32_e32 v22, v24, v26
	s_delay_alu instid0(VALU_DEP_1)
	v_fmac_f32_e32 v22, v23, v21
	scratch_store_b32 off, v22, s38
	s_add_i32 s38, s38, -4
	s_cmp_le_i32 s42, s36
	s_cbranch_scc0 .LBB0_39
	s_branch .LBB0_36
.LBB0_40:
	s_endpgm
	.section	.rodata,"a",@progbits
	.p2align	6, 0x0
	.amdhsa_kernel _Z28Pathcalc_Portfolio_KernelGPUPfS_PKfPKiS1_fiii
		.amdhsa_group_segment_fixed_size 0
		.amdhsa_private_segment_fixed_size 14416
		.amdhsa_kernarg_size 312
		.amdhsa_user_sgpr_count 15
		.amdhsa_user_sgpr_dispatch_ptr 0
		.amdhsa_user_sgpr_queue_ptr 0
		.amdhsa_user_sgpr_kernarg_segment_ptr 1
		.amdhsa_user_sgpr_dispatch_id 0
		.amdhsa_user_sgpr_private_segment_size 0
		.amdhsa_wavefront_size32 1
		.amdhsa_uses_dynamic_stack 0
		.amdhsa_enable_private_segment 1
		.amdhsa_system_sgpr_workgroup_id_x 1
		.amdhsa_system_sgpr_workgroup_id_y 0
		.amdhsa_system_sgpr_workgroup_id_z 0
		.amdhsa_system_sgpr_workgroup_info 0
		.amdhsa_system_vgpr_workitem_id 0
		.amdhsa_next_free_vgpr 34
		.amdhsa_next_free_sgpr 43
		.amdhsa_reserve_vcc 1
		.amdhsa_float_round_mode_32 0
		.amdhsa_float_round_mode_16_64 0
		.amdhsa_float_denorm_mode_32 3
		.amdhsa_float_denorm_mode_16_64 3
		.amdhsa_dx10_clamp 1
		.amdhsa_ieee_mode 1
		.amdhsa_fp16_overflow 0
		.amdhsa_workgroup_processor_mode 1
		.amdhsa_memory_ordered 1
		.amdhsa_forward_progress 0
		.amdhsa_shared_vgpr_count 0
		.amdhsa_exception_fp_ieee_invalid_op 0
		.amdhsa_exception_fp_denorm_src 0
		.amdhsa_exception_fp_ieee_div_zero 0
		.amdhsa_exception_fp_ieee_overflow 0
		.amdhsa_exception_fp_ieee_underflow 0
		.amdhsa_exception_fp_ieee_inexact 0
		.amdhsa_exception_int_div_zero 0
	.end_amdhsa_kernel
	.text
.Lfunc_end0:
	.size	_Z28Pathcalc_Portfolio_KernelGPUPfS_PKfPKiS1_fiii, .Lfunc_end0-_Z28Pathcalc_Portfolio_KernelGPUPfS_PKfPKiS1_fiii
                                        ; -- End function
	.section	.AMDGPU.csdata,"",@progbits
; Kernel info:
; codeLenInByte = 2956
; NumSgprs: 45
; NumVgprs: 34
; ScratchSize: 14416
; MemoryBound: 0
; FloatMode: 240
; IeeeMode: 1
; LDSByteSize: 0 bytes/workgroup (compile time only)
; SGPRBlocks: 5
; VGPRBlocks: 4
; NumSGPRsForWavesPerEU: 45
; NumVGPRsForWavesPerEU: 34
; Occupancy: 16
; WaveLimiterHint : 0
; COMPUTE_PGM_RSRC2:SCRATCH_EN: 1
; COMPUTE_PGM_RSRC2:USER_SGPR: 15
; COMPUTE_PGM_RSRC2:TRAP_HANDLER: 0
; COMPUTE_PGM_RSRC2:TGID_X_EN: 1
; COMPUTE_PGM_RSRC2:TGID_Y_EN: 0
; COMPUTE_PGM_RSRC2:TGID_Z_EN: 0
; COMPUTE_PGM_RSRC2:TIDIG_COMP_CNT: 0
	.text
	.protected	_Z29Pathcalc_Portfolio_KernelGPU2PfPKfPKiS1_fiii ; -- Begin function _Z29Pathcalc_Portfolio_KernelGPU2PfPKfPKiS1_fiii
	.globl	_Z29Pathcalc_Portfolio_KernelGPU2PfPKfPKiS1_fiii
	.p2align	8
	.type	_Z29Pathcalc_Portfolio_KernelGPU2PfPKfPKiS1_fiii,@function
_Z29Pathcalc_Portfolio_KernelGPU2PfPKfPKiS1_fiii: ; @_Z29Pathcalc_Portfolio_KernelGPU2PfPKfPKiS1_fiii
; %bb.0:
	s_load_b32 s4, s[0:1], 0x3c
	s_add_u32 s2, s0, 48
	s_addc_u32 s3, s1, 0
	s_waitcnt lgkmcnt(0)
	s_and_b32 s20, s4, 0xffff
	s_mov_b32 s4, exec_lo
	v_mad_u64_u32 v[1:2], null, s15, s20, v[0:1]
	s_delay_alu instid0(VALU_DEP_1)
	v_cmpx_gt_i32_e32 0x17700, v1
	s_cbranch_execz .LBB1_22
; %bb.1:
	s_clause 0x1
	s_load_b256 s[4:11], s[0:1], 0x10
	s_load_b128 s[12:15], s[0:1], 0x0
	s_load_b32 s1, s[2:3], 0x0
	v_add_nc_u32_e64 v3, 0xa0, -4
	v_or_b32_e64 v4, 0x140, 4
	s_mov_b32 s21, 0
	s_waitcnt lgkmcnt(0)
	v_mul_f32_e64 v0, 0x4f800000, s8
	v_cmp_gt_f32_e64 vcc_lo, 0xf800000, s8
	s_cmp_gt_i32 s10, 0
	s_mul_i32 s20, s1, s20
	s_cselect_b32 s16, -1, 0
	s_cmp_gt_i32 s9, 0
	v_cndmask_b32_e32 v2, s8, v0, vcc_lo
	s_cselect_b32 s17, -1, 0
	s_cmp_lt_i32 s9, s10
	v_add_nc_u32_e64 v0, 0, -4
	s_cselect_b32 s18, -1, 0
	v_sqrt_f32_e32 v5, v2
	s_cmp_gt_i32 s11, 0
	s_cselect_b32 s19, -1, 0
	s_waitcnt_depctr 0xfff
	v_add_nc_u32_e32 v7, 1, v5
	v_add_nc_u32_e32 v6, -1, v5
	s_delay_alu instid0(VALU_DEP_2) | instskip(NEXT) | instid1(VALU_DEP_2)
	v_fma_f32 v9, -v7, v5, v2
	v_fma_f32 v8, -v6, v5, v2
	s_delay_alu instid0(VALU_DEP_1) | instskip(NEXT) | instid1(VALU_DEP_1)
	v_cmp_ge_f32_e64 s0, 0, v8
	v_cndmask_b32_e64 v8, v5, v6, s0
	v_mov_b32_e32 v5, 0x3e99999a
	v_cmp_lt_f32_e64 s0, 0, v9
	v_mov_b32_e32 v6, 0x3d4ccccd
	s_delay_alu instid0(VALU_DEP_2) | instskip(SKIP_1) | instid1(VALU_DEP_1)
	v_cndmask_b32_e64 v7, v8, v7, s0
	s_lshl_b32 s0, s9, 2
	v_mul_f32_e32 v8, 0x37800000, v7
	s_delay_alu instid0(VALU_DEP_1) | instskip(SKIP_2) | instid1(VALU_DEP_3)
	v_cndmask_b32_e32 v8, v7, v8, vcc_lo
	v_cmp_class_f32_e64 vcc_lo, v2, 0x260
	v_add_nc_u32_e64 v7, 0x140, s0
	v_cndmask_b32_e32 v8, v8, v2, vcc_lo
	s_branch .LBB1_4
.LBB1_2:                                ;   in Loop: Header=BB1_4 Depth=1
	v_mov_b32_e32 v10, 1.0
.LBB1_3:                                ;   in Loop: Header=BB1_4 Depth=1
	v_ashrrev_i32_e32 v2, 31, v1
	s_delay_alu instid0(VALU_DEP_1) | instskip(NEXT) | instid1(VALU_DEP_3)
	v_lshlrev_b64 v[11:12], 2, v[1:2]
	v_dual_mul_f32 v2, v9, v10 :: v_dual_add_nc_u32 v1, s20, v1
	s_delay_alu instid0(VALU_DEP_1) | instskip(NEXT) | instid1(VALU_DEP_3)
	v_cmp_lt_i32_e32 vcc_lo, 0x176ff, v1
	v_add_co_u32 v9, s0, s12, v11
	s_delay_alu instid0(VALU_DEP_1)
	v_add_co_ci_u32_e64 v10, s0, s13, v12, s0
	s_or_b32 s21, vcc_lo, s21
	global_store_b32 v[9:10], v2, off
	s_and_not1_b32 exec_lo, exec_lo, s21
	s_cbranch_execz .LBB1_22
.LBB1_4:                                ; =>This Loop Header: Depth=1
                                        ;     Child Loop BB1_6 Depth 2
                                        ;     Child Loop BB1_10 Depth 2
                                        ;       Child Loop BB1_12 Depth 3
                                        ;     Child Loop BB1_15 Depth 2
                                        ;     Child Loop BB1_18 Depth 2
	;; [unrolled: 1-line block ×3, first 2 shown]
	s_and_not1_b32 vcc_lo, exec_lo, s16
	s_cbranch_vccnz .LBB1_7
; %bb.5:                                ;   in Loop: Header=BB1_4 Depth=1
	v_mov_b32_e32 v2, 0x280
	v_mov_b32_e32 v9, 0x140
	s_mov_b32 s0, s10
.LBB1_6:                                ;   Parent Loop BB1_4 Depth=1
                                        ; =>  This Inner Loop Header: Depth=2
	scratch_store_b32 v2, v5, off
	scratch_store_b32 v9, v6, off
	v_add_nc_u32_e32 v2, 4, v2
	v_add_nc_u32_e32 v9, 4, v9
	s_add_i32 s0, s0, -1
	s_delay_alu instid0(SALU_CYCLE_1)
	s_cmp_lg_u32 s0, 0
	s_cbranch_scc1 .LBB1_6
.LBB1_7:                                ;   in Loop: Header=BB1_4 Depth=1
	s_and_not1_b32 vcc_lo, exec_lo, s17
	s_cbranch_vccnz .LBB1_13
; %bb.8:                                ;   in Loop: Header=BB1_4 Depth=1
	v_mov_b32_e32 v2, v4
	s_mov_b32 s2, 0
	s_branch .LBB1_10
.LBB1_9:                                ;   in Loop: Header=BB1_10 Depth=2
	s_set_inst_prefetch_distance 0x2
	v_add_nc_u32_e32 v2, 4, v2
	s_cmp_eq_u32 s2, s9
	s_cbranch_scc1 .LBB1_13
.LBB1_10:                               ;   Parent Loop BB1_4 Depth=1
                                        ; =>  This Loop Header: Depth=2
                                        ;       Child Loop BB1_12 Depth 3
	s_mov_b32 s0, s2
	s_add_i32 s2, s2, 1
	s_delay_alu instid0(SALU_CYCLE_1)
	s_cmp_ge_i32 s2, s10
	s_cbranch_scc1 .LBB1_9
; %bb.11:                               ;   in Loop: Header=BB1_10 Depth=2
	s_lshl_b32 s0, s0, 2
	v_mov_b32_e32 v11, v2
	s_addk_i32 s0, 0x280
	s_mov_b32 s3, s2
	scratch_load_b32 v10, off, s0
	v_mov_b32_e32 v9, 0
	s_mov_b64 s[0:1], s[14:15]
	s_waitcnt vmcnt(0)
	v_mul_f32_e32 v10, v8, v10
	s_set_inst_prefetch_distance 0x1
	.p2align	6
.LBB1_12:                               ;   Parent Loop BB1_4 Depth=1
                                        ;     Parent Loop BB1_10 Depth=2
                                        ; =>    This Inner Loop Header: Depth=3
	scratch_load_b32 v12, v11, off
	s_load_b32 s22, s[0:1], 0x0
	s_add_i32 s3, s3, 1
	s_add_u32 s0, s0, 4
	s_addc_u32 s1, s1, 0
	s_cmp_ge_i32 s3, s10
	s_waitcnt lgkmcnt(0)
	v_mul_f32_e64 v13, s22, s8
	s_waitcnt vmcnt(0)
	s_delay_alu instid0(VALU_DEP_1) | instskip(SKIP_1) | instid1(VALU_DEP_1)
	v_mul_f32_e32 v14, v13, v12
	v_fma_f32 v15, v12, s8, 1.0
	v_div_scale_f32 v16, null, v15, v15, v14
	s_delay_alu instid0(VALU_DEP_1) | instskip(SKIP_2) | instid1(VALU_DEP_1)
	v_rcp_f32_e32 v17, v16
	s_waitcnt_depctr 0xfff
	v_fma_f32 v18, -v16, v17, 1.0
	v_fmac_f32_e32 v17, v18, v17
	v_div_scale_f32 v19, vcc_lo, v14, v15, v14
	s_delay_alu instid0(VALU_DEP_1) | instskip(NEXT) | instid1(VALU_DEP_1)
	v_mul_f32_e32 v18, v19, v17
	v_fma_f32 v20, -v16, v18, v19
	s_delay_alu instid0(VALU_DEP_1) | instskip(NEXT) | instid1(VALU_DEP_1)
	v_fmac_f32_e32 v18, v20, v17
	v_fma_f32 v16, -v16, v18, v19
	s_delay_alu instid0(VALU_DEP_1) | instskip(NEXT) | instid1(VALU_DEP_1)
	v_div_fmas_f32 v16, v16, v17, v18
	v_div_fixup_f32 v14, v16, v15, v14
	s_delay_alu instid0(VALU_DEP_1) | instskip(SKIP_1) | instid1(VALU_DEP_2)
	v_add_f32_e32 v9, v9, v14
	v_fma_f32 v14, -0.5, v13, v10
	v_mul_f32_e32 v13, v13, v9
	s_delay_alu instid0(VALU_DEP_1) | instskip(NEXT) | instid1(VALU_DEP_1)
	v_fmac_f32_e32 v13, s22, v14
	v_mul_f32_e32 v13, 0x3fb8aa3b, v13
	s_delay_alu instid0(VALU_DEP_1)
	v_exp_f32_e32 v13, v13
	s_waitcnt_depctr 0xfff
	v_mul_f32_e32 v12, v12, v13
	scratch_store_b32 v11, v12, off
	v_add_nc_u32_e32 v11, 4, v11
	s_cbranch_scc0 .LBB1_12
	s_branch .LBB1_9
.LBB1_13:                               ;   in Loop: Header=BB1_4 Depth=1
	s_and_not1_b32 vcc_lo, exec_lo, s18
	s_cbranch_vccnz .LBB1_16
; %bb.14:                               ;   in Loop: Header=BB1_4 Depth=1
	v_dual_mov_b32 v2, 0xa0 :: v_dual_mov_b32 v9, 0
	v_dual_mov_b32 v10, 0 :: v_dual_mov_b32 v11, 1.0
	v_mov_b32_e32 v12, v7
	s_mov_b32 s0, s9
	s_set_inst_prefetch_distance 0x1
	.p2align	6
.LBB1_15:                               ;   Parent Loop BB1_4 Depth=1
                                        ; =>  This Inner Loop Header: Depth=2
	scratch_load_b32 v13, v12, off
	s_add_i32 s0, s0, 1
	v_add_nc_u32_e32 v12, 4, v12
	s_cmp_ge_i32 s0, s10
	s_waitcnt vmcnt(0)
	v_fma_f32 v13, v13, s8, 1.0
	s_delay_alu instid0(VALU_DEP_1) | instskip(SKIP_1) | instid1(VALU_DEP_2)
	v_div_scale_f32 v14, null, v13, v13, v11
	v_div_scale_f32 v17, vcc_lo, v11, v13, v11
	v_rcp_f32_e32 v15, v14
	s_waitcnt_depctr 0xfff
	v_fma_f32 v16, -v14, v15, 1.0
	s_delay_alu instid0(VALU_DEP_1) | instskip(NEXT) | instid1(VALU_DEP_1)
	v_fmac_f32_e32 v15, v16, v15
	v_mul_f32_e32 v16, v17, v15
	s_delay_alu instid0(VALU_DEP_1) | instskip(NEXT) | instid1(VALU_DEP_1)
	v_fma_f32 v18, -v14, v16, v17
	v_fmac_f32_e32 v16, v18, v15
	s_delay_alu instid0(VALU_DEP_1) | instskip(NEXT) | instid1(VALU_DEP_1)
	v_fma_f32 v14, -v14, v16, v17
	v_div_fmas_f32 v14, v14, v15, v16
	s_delay_alu instid0(VALU_DEP_1) | instskip(NEXT) | instid1(VALU_DEP_1)
	v_div_fixup_f32 v11, v14, v13, v11
	v_fmac_f32_e32 v10, s8, v11
	scratch_store_b32 v9, v11, off
	v_add_nc_u32_e32 v9, 4, v9
	scratch_store_b32 v2, v10, off
	v_add_nc_u32_e32 v2, 4, v2
	s_cbranch_scc0 .LBB1_15
.LBB1_16:                               ;   in Loop: Header=BB1_4 Depth=1
	s_set_inst_prefetch_distance 0x2
	v_mov_b32_e32 v9, 0
	s_and_not1_b32 vcc_lo, exec_lo, s19
	s_cbranch_vccnz .LBB1_19
; %bb.17:                               ;   in Loop: Header=BB1_4 Depth=1
	s_mov_b64 s[0:1], s[6:7]
	s_mov_b64 s[2:3], s[4:5]
	s_mov_b32 s22, s11
	.p2align	6
.LBB1_18:                               ;   Parent Loop BB1_4 Depth=1
                                        ; =>  This Inner Loop Header: Depth=2
	s_load_b32 s23, s[2:3], 0x0
	s_add_i32 s22, s22, -1
	s_waitcnt lgkmcnt(0)
	s_lshl_b32 s23, s23, 2
	s_add_u32 s2, s2, 4
	v_add_nc_u32_e32 v2, s23, v0
	v_add_nc_u32_e32 v10, s23, v3
	s_addc_u32 s3, s3, 0
	scratch_load_b32 v2, v2, off
	scratch_load_b32 v10, v10, off
	s_load_b32 s23, s[0:1], 0x0
	s_add_u32 s0, s0, 4
	s_addc_u32 s1, s1, 0
	s_cmp_eq_u32 s22, 0
	s_waitcnt vmcnt(0) lgkmcnt(0)
	v_fmac_f32_e32 v2, s23, v10
	s_delay_alu instid0(VALU_DEP_1) | instskip(NEXT) | instid1(VALU_DEP_1)
	v_add_f32_e32 v2, -1.0, v2
	v_fmamk_f32 v10, v2, 0xc2c80000, v9
	v_cmp_gt_f32_e32 vcc_lo, 0, v2
	s_delay_alu instid0(VALU_DEP_2)
	v_cndmask_b32_e32 v9, v9, v10, vcc_lo
	s_cbranch_scc0 .LBB1_18
.LBB1_19:                               ;   in Loop: Header=BB1_4 Depth=1
	s_and_not1_b32 vcc_lo, exec_lo, s17
	s_cbranch_vccnz .LBB1_2
; %bb.20:                               ;   in Loop: Header=BB1_4 Depth=1
	v_mov_b32_e32 v2, 0x140
	v_mov_b32_e32 v10, 1.0
	s_mov_b32 s0, s9
	.p2align	6
.LBB1_21:                               ;   Parent Loop BB1_4 Depth=1
                                        ; =>  This Inner Loop Header: Depth=2
	scratch_load_b32 v11, v2, off
	s_add_i32 s0, s0, -1
	v_add_nc_u32_e32 v2, 4, v2
	s_cmp_lg_u32 s0, 0
	s_waitcnt vmcnt(0)
	v_fma_f32 v11, v11, s8, 1.0
	s_delay_alu instid0(VALU_DEP_1) | instskip(SKIP_1) | instid1(VALU_DEP_2)
	v_div_scale_f32 v12, null, v11, v11, v10
	v_div_scale_f32 v15, vcc_lo, v10, v11, v10
	v_rcp_f32_e32 v13, v12
	s_waitcnt_depctr 0xfff
	v_fma_f32 v14, -v12, v13, 1.0
	s_delay_alu instid0(VALU_DEP_1) | instskip(NEXT) | instid1(VALU_DEP_1)
	v_fmac_f32_e32 v13, v14, v13
	v_mul_f32_e32 v14, v15, v13
	s_delay_alu instid0(VALU_DEP_1) | instskip(NEXT) | instid1(VALU_DEP_1)
	v_fma_f32 v16, -v12, v14, v15
	v_fmac_f32_e32 v14, v16, v13
	s_delay_alu instid0(VALU_DEP_1) | instskip(NEXT) | instid1(VALU_DEP_1)
	v_fma_f32 v12, -v12, v14, v15
	v_div_fmas_f32 v12, v12, v13, v14
	s_delay_alu instid0(VALU_DEP_1)
	v_div_fixup_f32 v10, v12, v11, v10
	s_cbranch_scc1 .LBB1_21
	s_branch .LBB1_3
.LBB1_22:
	s_endpgm
	.section	.rodata,"a",@progbits
	.p2align	6, 0x0
	.amdhsa_kernel _Z29Pathcalc_Portfolio_KernelGPU2PfPKfPKiS1_fiii
		.amdhsa_group_segment_fixed_size 0
		.amdhsa_private_segment_fixed_size 976
		.amdhsa_kernarg_size 304
		.amdhsa_user_sgpr_count 15
		.amdhsa_user_sgpr_dispatch_ptr 0
		.amdhsa_user_sgpr_queue_ptr 0
		.amdhsa_user_sgpr_kernarg_segment_ptr 1
		.amdhsa_user_sgpr_dispatch_id 0
		.amdhsa_user_sgpr_private_segment_size 0
		.amdhsa_wavefront_size32 1
		.amdhsa_uses_dynamic_stack 0
		.amdhsa_enable_private_segment 1
		.amdhsa_system_sgpr_workgroup_id_x 1
		.amdhsa_system_sgpr_workgroup_id_y 0
		.amdhsa_system_sgpr_workgroup_id_z 0
		.amdhsa_system_sgpr_workgroup_info 0
		.amdhsa_system_vgpr_workitem_id 0
		.amdhsa_next_free_vgpr 21
		.amdhsa_next_free_sgpr 24
		.amdhsa_reserve_vcc 1
		.amdhsa_float_round_mode_32 0
		.amdhsa_float_round_mode_16_64 0
		.amdhsa_float_denorm_mode_32 3
		.amdhsa_float_denorm_mode_16_64 3
		.amdhsa_dx10_clamp 1
		.amdhsa_ieee_mode 1
		.amdhsa_fp16_overflow 0
		.amdhsa_workgroup_processor_mode 1
		.amdhsa_memory_ordered 1
		.amdhsa_forward_progress 0
		.amdhsa_shared_vgpr_count 0
		.amdhsa_exception_fp_ieee_invalid_op 0
		.amdhsa_exception_fp_denorm_src 0
		.amdhsa_exception_fp_ieee_div_zero 0
		.amdhsa_exception_fp_ieee_overflow 0
		.amdhsa_exception_fp_ieee_underflow 0
		.amdhsa_exception_fp_ieee_inexact 0
		.amdhsa_exception_int_div_zero 0
	.end_amdhsa_kernel
	.text
.Lfunc_end1:
	.size	_Z29Pathcalc_Portfolio_KernelGPU2PfPKfPKiS1_fiii, .Lfunc_end1-_Z29Pathcalc_Portfolio_KernelGPU2PfPKfPKiS1_fiii
                                        ; -- End function
	.section	.AMDGPU.csdata,"",@progbits
; Kernel info:
; codeLenInByte = 1312
; NumSgprs: 26
; NumVgprs: 21
; ScratchSize: 976
; MemoryBound: 0
; FloatMode: 240
; IeeeMode: 1
; LDSByteSize: 0 bytes/workgroup (compile time only)
; SGPRBlocks: 3
; VGPRBlocks: 2
; NumSGPRsForWavesPerEU: 26
; NumVGPRsForWavesPerEU: 21
; Occupancy: 16
; WaveLimiterHint : 0
; COMPUTE_PGM_RSRC2:SCRATCH_EN: 1
; COMPUTE_PGM_RSRC2:USER_SGPR: 15
; COMPUTE_PGM_RSRC2:TRAP_HANDLER: 0
; COMPUTE_PGM_RSRC2:TGID_X_EN: 1
; COMPUTE_PGM_RSRC2:TGID_Y_EN: 0
; COMPUTE_PGM_RSRC2:TGID_Z_EN: 0
; COMPUTE_PGM_RSRC2:TIDIG_COMP_CNT: 0
	.text
	.p2alignl 7, 3214868480
	.fill 96, 4, 3214868480
	.type	__hip_cuid_9407acbc764822cb,@object ; @__hip_cuid_9407acbc764822cb
	.section	.bss,"aw",@nobits
	.globl	__hip_cuid_9407acbc764822cb
__hip_cuid_9407acbc764822cb:
	.byte	0                               ; 0x0
	.size	__hip_cuid_9407acbc764822cb, 1

	.ident	"AMD clang version 19.0.0git (https://github.com/RadeonOpenCompute/llvm-project roc-6.4.0 25133 c7fe45cf4b819c5991fe208aaa96edf142730f1d)"
	.section	".note.GNU-stack","",@progbits
	.addrsig
	.addrsig_sym __hip_cuid_9407acbc764822cb
	.amdgpu_metadata
---
amdhsa.kernels:
  - .args:
      - .actual_access:  write_only
        .address_space:  global
        .offset:         0
        .size:           8
        .value_kind:     global_buffer
      - .actual_access:  write_only
        .address_space:  global
        .offset:         8
        .size:           8
        .value_kind:     global_buffer
      - .actual_access:  read_only
        .address_space:  global
        .offset:         16
        .size:           8
        .value_kind:     global_buffer
      - .actual_access:  read_only
        .address_space:  global
        .offset:         24
        .size:           8
        .value_kind:     global_buffer
      - .actual_access:  read_only
        .address_space:  global
        .offset:         32
        .size:           8
        .value_kind:     global_buffer
      - .offset:         40
        .size:           4
        .value_kind:     by_value
      - .offset:         44
        .size:           4
        .value_kind:     by_value
      - .offset:         48
        .size:           4
        .value_kind:     by_value
      - .offset:         52
        .size:           4
        .value_kind:     by_value
      - .offset:         56
        .size:           4
        .value_kind:     hidden_block_count_x
      - .offset:         60
        .size:           4
        .value_kind:     hidden_block_count_y
      - .offset:         64
        .size:           4
        .value_kind:     hidden_block_count_z
      - .offset:         68
        .size:           2
        .value_kind:     hidden_group_size_x
      - .offset:         70
        .size:           2
        .value_kind:     hidden_group_size_y
      - .offset:         72
        .size:           2
        .value_kind:     hidden_group_size_z
      - .offset:         74
        .size:           2
        .value_kind:     hidden_remainder_x
      - .offset:         76
        .size:           2
        .value_kind:     hidden_remainder_y
      - .offset:         78
        .size:           2
        .value_kind:     hidden_remainder_z
      - .offset:         96
        .size:           8
        .value_kind:     hidden_global_offset_x
      - .offset:         104
        .size:           8
        .value_kind:     hidden_global_offset_y
      - .offset:         112
        .size:           8
        .value_kind:     hidden_global_offset_z
      - .offset:         120
        .size:           2
        .value_kind:     hidden_grid_dims
    .group_segment_fixed_size: 0
    .kernarg_segment_align: 8
    .kernarg_segment_size: 312
    .language:       OpenCL C
    .language_version:
      - 2
      - 0
    .max_flat_workgroup_size: 1024
    .name:           _Z28Pathcalc_Portfolio_KernelGPUPfS_PKfPKiS1_fiii
    .private_segment_fixed_size: 14416
    .sgpr_count:     45
    .sgpr_spill_count: 0
    .symbol:         _Z28Pathcalc_Portfolio_KernelGPUPfS_PKfPKiS1_fiii.kd
    .uniform_work_group_size: 1
    .uses_dynamic_stack: false
    .vgpr_count:     34
    .vgpr_spill_count: 0
    .wavefront_size: 32
    .workgroup_processor_mode: 1
  - .args:
      - .actual_access:  write_only
        .address_space:  global
        .offset:         0
        .size:           8
        .value_kind:     global_buffer
      - .actual_access:  read_only
        .address_space:  global
        .offset:         8
        .size:           8
        .value_kind:     global_buffer
      - .actual_access:  read_only
        .address_space:  global
        .offset:         16
        .size:           8
        .value_kind:     global_buffer
      - .actual_access:  read_only
        .address_space:  global
        .offset:         24
        .size:           8
        .value_kind:     global_buffer
      - .offset:         32
        .size:           4
        .value_kind:     by_value
      - .offset:         36
        .size:           4
        .value_kind:     by_value
      - .offset:         40
        .size:           4
        .value_kind:     by_value
      - .offset:         44
        .size:           4
        .value_kind:     by_value
      - .offset:         48
        .size:           4
        .value_kind:     hidden_block_count_x
      - .offset:         52
        .size:           4
        .value_kind:     hidden_block_count_y
      - .offset:         56
        .size:           4
        .value_kind:     hidden_block_count_z
      - .offset:         60
        .size:           2
        .value_kind:     hidden_group_size_x
      - .offset:         62
        .size:           2
        .value_kind:     hidden_group_size_y
      - .offset:         64
        .size:           2
        .value_kind:     hidden_group_size_z
      - .offset:         66
        .size:           2
        .value_kind:     hidden_remainder_x
      - .offset:         68
        .size:           2
        .value_kind:     hidden_remainder_y
      - .offset:         70
        .size:           2
        .value_kind:     hidden_remainder_z
      - .offset:         88
        .size:           8
        .value_kind:     hidden_global_offset_x
      - .offset:         96
        .size:           8
        .value_kind:     hidden_global_offset_y
      - .offset:         104
        .size:           8
        .value_kind:     hidden_global_offset_z
      - .offset:         112
        .size:           2
        .value_kind:     hidden_grid_dims
    .group_segment_fixed_size: 0
    .kernarg_segment_align: 8
    .kernarg_segment_size: 304
    .language:       OpenCL C
    .language_version:
      - 2
      - 0
    .max_flat_workgroup_size: 1024
    .name:           _Z29Pathcalc_Portfolio_KernelGPU2PfPKfPKiS1_fiii
    .private_segment_fixed_size: 976
    .sgpr_count:     26
    .sgpr_spill_count: 0
    .symbol:         _Z29Pathcalc_Portfolio_KernelGPU2PfPKfPKiS1_fiii.kd
    .uniform_work_group_size: 1
    .uses_dynamic_stack: false
    .vgpr_count:     21
    .vgpr_spill_count: 0
    .wavefront_size: 32
    .workgroup_processor_mode: 1
amdhsa.target:   amdgcn-amd-amdhsa--gfx1100
amdhsa.version:
  - 1
  - 2
...

	.end_amdgpu_metadata
